;; amdgpu-corpus repo=zjin-lcf/HeCBench kind=compiled arch=gfx90a opt=O3
	.text
	.amdgcn_target "amdgcn-amd-amdhsa--gfx90a"
	.amdhsa_code_object_version 6
	.protected	_Z28Pathcalc_Portfolio_KernelGPUPfS_PKfPKiS1_fiii ; -- Begin function _Z28Pathcalc_Portfolio_KernelGPUPfS_PKfPKiS1_fiii
	.globl	_Z28Pathcalc_Portfolio_KernelGPUPfS_PKfPKiS1_fiii
	.p2align	8
	.type	_Z28Pathcalc_Portfolio_KernelGPUPfS_PKfPKiS1_fiii,@function
_Z28Pathcalc_Portfolio_KernelGPUPfS_PKfPKiS1_fiii: ; @_Z28Pathcalc_Portfolio_KernelGPUPfS_PKfPKiS1_fiii
; %bb.0:
	s_add_u32 s0, s0, s9
	s_load_dword s9, s[4:5], 0x44
	s_addc_u32 s1, s1, 0
	s_add_u32 s6, s4, 56
	s_addc_u32 s7, s5, 0
	s_waitcnt lgkmcnt(0)
	s_and_b32 s9, s9, 0xffff
	s_mul_i32 s8, s8, s9
	v_add_u32_e32 v0, s8, v0
	s_mov_b32 s8, 0x17700
	v_cmp_gt_i32_e32 vcc, s8, v0
	s_and_saveexec_b64 s[10:11], vcc
	s_cbranch_execz .LBB0_64
; %bb.1:
	s_load_dword s33, s[6:7], 0x0
	s_load_dwordx4 s[20:23], s[4:5], 0x28
	s_load_dwordx2 s[24:25], s[4:5], 0x20
	s_load_dwordx8 s[12:19], s[4:5], 0x0
	v_mov_b32_e32 v1, 0xf800000
	v_mov_b32_e32 v2, 0x4f800000
	s_waitcnt lgkmcnt(0)
	s_cmp_gt_i32 s22, 0
	s_cselect_b64 s[6:7], -1, 0
	s_cmp_gt_i32 s21, 0
	s_cselect_b64 s[26:27], -1, 0
	s_sub_i32 s56, s22, s21
	v_mul_f32_e32 v2, s20, v2
	v_mov_b32_e32 v5, s20
	v_cmp_lt_f32_e32 vcc, s20, v1
	s_cmp_gt_i32 s56, 0
	v_cndmask_b32_e32 v1, v5, v2, vcc
	s_cselect_b64 s[28:29], -1, 0
	s_lshl_b32 s57, s21, 2
	v_sqrt_f32_e32 v2, v1
	s_cmp_gt_i32 s23, 0
	s_cselect_b64 s[30:31], -1, 0
	s_cmp_gt_i32 s22, s21
	s_cselect_b64 s[34:35], -1, 0
	s_cmp_lg_u32 s22, 1
	s_mul_i32 s33, s33, s9
	s_cselect_b64 s[8:9], -1, 0
	s_and_b32 s58, s22, 0x7ffffffe
	v_add_u32_e32 v3, -1, v2
	s_cmp_lg_u32 s58, s22
	v_fma_f32 v4, -v3, v2, v1
	s_cselect_b64 s[36:37], -1, 0
	s_cmp_lg_u32 s21, 1
	v_cmp_ge_f32_e64 s[4:5], 0, v4
	v_add_u32_e32 v4, 1, v2
	s_cselect_b64 s[38:39], -1, 0
	s_and_b32 s59, s21, 0x7ffffffe
	v_cndmask_b32_e64 v3, v2, v3, s[4:5]
	v_fma_f32 v2, -v4, v2, v1
	s_cmp_lg_u32 s59, s21
	v_cmp_lt_f32_e64 s[4:5], 0, v2
	s_cselect_b64 s[42:43], -1, 0
	s_cmp_gt_u32 s56, 3
	v_cndmask_b32_e64 v2, v3, v4, s[4:5]
	s_cselect_b64 s[44:45], -1, 0
	s_and_b32 s60, s56, -4
	v_mul_f32_e32 v3, 0x37800000, v2
	s_add_i32 s61, s60, s21
	v_cndmask_b32_e32 v2, v2, v3, vcc
	v_mov_b32_e32 v3, 0x260
	s_cmp_lg_u32 s56, s60
	s_mul_i32 s5, s22, s21
	v_cmp_class_f32_e32 vcc, v1, v3
	s_cselect_b64 s[46:47], -1, 0
	v_mov_b32_e32 v9, 0x3d0
	s_lshl_b32 s5, s5, 2
	v_cndmask_b32_e32 v6, v2, v1, vcc
	v_add_u32_e32 v1, s5, v9
	s_add_i32 s5, s57, 4
	s_mul_i32 s5, s22, s5
	v_mov_b32_e32 v7, 0x290
	s_lshl_b32 s4, s22, 2
	v_add_u32_e32 v18, -4, v1
	v_add_u32_e32 v1, s5, v9
	v_add_u32_e32 v19, -4, v1
	v_add_u32_e32 v1, s4, v7
	v_add_u32_e32 v20, -4, v1
	v_cndmask_b32_e64 v1, 0, 1, s[6:7]
	s_add_i32 s62, s4, 4
	s_add_i32 s64, s4, -8
	v_mov_b32_e32 v12, 0x150
	v_mov_b32_e32 v14, 0x1f0
	;; [unrolled: 1-line block ×3, first 2 shown]
	s_sub_i32 s66, 0, s4
	v_cmp_ne_u32_e64 s[4:5], 1, v1
	v_cndmask_b32_e64 v1, 0, 1, s[8:9]
	v_add_u32_e32 v8, s57, v7
	s_mov_b32 s40, s20
	s_mov_b32 s41, s20
	v_add_u32_e32 v10, s62, v9
	v_or_b32_e32 v11, 4, v7
	s_add_i32 s63, s56, 1
	v_subrev_u32_e32 v13, s57, v12
	v_subrev_u32_e32 v15, s57, v14
	;; [unrolled: 1-line block ×3, first 2 shown]
	s_not_b32 s65, s21
	s_mov_b64 s[48:49], 0
	v_cmp_ne_u32_e64 s[6:7], 1, v1
	v_mov_b32_e32 v21, 0x3e99999a
	v_mov_b32_e32 v22, 0x3d4ccccd
	;; [unrolled: 1-line block ×3, first 2 shown]
	v_cndmask_b32_e64 v24, 0, 1, s[26:27]
	v_mov_b32_e32 v25, 0
	v_mov_b32_e32 v26, 0xb0
	s_mov_b32 s67, 0x176ff
	v_mov_b32_e32 v27, 0xc2c80000
	s_branch .LBB0_3
.LBB0_2:                                ;   in Loop: Header=BB0_3 Depth=1
	buffer_load_dword v1, off, s[0:3], 0 offset:972
	v_mov_b32_e32 v4, s15
	v_add_co_u32_e32 v2, vcc, s14, v2
	v_addc_co_u32_e32 v3, vcc, v4, v3, vcc
	v_add_u32_e32 v0, s33, v0
	v_cmp_lt_i32_e32 vcc, s67, v0
	s_or_b64 s[48:49], vcc, s[48:49]
	s_waitcnt vmcnt(0)
	global_store_dword v[2:3], v1, off
	s_andn2_b64 exec, exec, s[48:49]
	s_cbranch_execz .LBB0_64
.LBB0_3:                                ; =>This Loop Header: Depth=1
                                        ;     Child Loop BB0_6 Depth 2
                                        ;     Child Loop BB0_10 Depth 2
                                        ;     Child Loop BB0_13 Depth 2
                                        ;     Child Loop BB0_17 Depth 2
                                        ;     Child Loop BB0_21 Depth 2
                                        ;       Child Loop BB0_23 Depth 3
                                        ;     Child Loop BB0_26 Depth 2
                                        ;     Child Loop BB0_30 Depth 2
	;; [unrolled: 1-line block ×9, first 2 shown]
                                        ;       Child Loop BB0_63 Depth 3
	s_and_b64 vcc, exec, s[4:5]
	s_cbranch_vccnz .LBB0_18
; %bb.4:                                ;   in Loop: Header=BB0_3 Depth=1
	s_and_b64 vcc, exec, s[6:7]
	s_cbranch_vccnz .LBB0_8
; %bb.5:                                ;   in Loop: Header=BB0_3 Depth=1
	v_mov_b32_e32 v1, 0x3710
	v_mov_b32_e32 v2, 0x290
	s_mov_b32 s10, s58
.LBB0_6:                                ;   Parent Loop BB0_3 Depth=1
                                        ; =>  This Inner Loop Header: Depth=2
	s_add_i32 s10, s10, -2
	buffer_store_dword v21, v1, s[0:3], 0 offen offset:4
	buffer_store_dword v21, v1, s[0:3], 0 offen
	buffer_store_dword v22, v2, s[0:3], 0 offen offset:4
	buffer_store_dword v22, v2, s[0:3], 0 offen
	v_add_u32_e32 v1, 8, v1
	v_add_u32_e32 v2, 8, v2
	s_mov_b32 s11, s58
	s_cmp_lg_u32 s10, 0
	s_mov_b64 s[8:9], s[36:37]
	s_cbranch_scc1 .LBB0_6
; %bb.7:                                ;   in Loop: Header=BB0_3 Depth=1
	s_and_b64 vcc, exec, s[8:9]
	s_cbranch_vccnz .LBB0_9
	s_branch .LBB0_11
.LBB0_8:                                ;   in Loop: Header=BB0_3 Depth=1
	s_mov_b32 s11, 0
	s_cbranch_execz .LBB0_11
.LBB0_9:                                ;   in Loop: Header=BB0_3 Depth=1
	s_lshl_b32 s9, s11, 2
	s_sub_i32 s8, s22, s11
	v_add_u32_e32 v1, s9, v23
	v_add_u32_e32 v2, s9, v7
.LBB0_10:                               ;   Parent Loop BB0_3 Depth=1
                                        ; =>  This Inner Loop Header: Depth=2
	s_add_i32 s8, s8, -1
	buffer_store_dword v21, v1, s[0:3], 0 offen
	buffer_store_dword v22, v2, s[0:3], 0 offen
	v_add_u32_e32 v1, 4, v1
	s_cmp_lg_u32 s8, 0
	v_add_u32_e32 v2, 4, v2
	s_cbranch_scc1 .LBB0_10
.LBB0_11:                               ;   in Loop: Header=BB0_3 Depth=1
	s_and_b64 vcc, exec, s[6:7]
	s_cbranch_vccnz .LBB0_15
; %bb.12:                               ;   in Loop: Header=BB0_3 Depth=1
	v_mov_b32_e32 v1, 0x290
	v_mov_b32_e32 v2, 0x3d0
	s_mov_b32 s10, s58
.LBB0_13:                               ;   Parent Loop BB0_3 Depth=1
                                        ; =>  This Inner Loop Header: Depth=2
	buffer_load_dword v3, v1, s[0:3], 0 offen offset:4
	buffer_load_dword v4, v1, s[0:3], 0 offen
	s_add_i32 s10, s10, -2
	v_add_u32_e32 v1, 8, v1
	s_mov_b32 s11, s58
	s_mov_b64 s[8:9], s[36:37]
	s_cmp_lg_u32 s10, 0
	s_waitcnt vmcnt(1)
	buffer_store_dword v3, v2, s[0:3], 0 offen offset:4
	s_waitcnt vmcnt(1)
	buffer_store_dword v4, v2, s[0:3], 0 offen
	v_add_u32_e32 v2, 8, v2
	s_cbranch_scc1 .LBB0_13
; %bb.14:                               ;   in Loop: Header=BB0_3 Depth=1
	s_and_b64 vcc, exec, s[8:9]
	s_cbranch_vccnz .LBB0_16
	s_branch .LBB0_18
.LBB0_15:                               ;   in Loop: Header=BB0_3 Depth=1
	s_mov_b32 s11, 0
	s_cbranch_execz .LBB0_18
.LBB0_16:                               ;   in Loop: Header=BB0_3 Depth=1
	s_lshl_b32 s8, s11, 2
	v_add_u32_e32 v1, s8, v9
	v_add_u32_e32 v2, s8, v7
	s_sub_i32 s8, s22, s11
.LBB0_17:                               ;   Parent Loop BB0_3 Depth=1
                                        ; =>  This Inner Loop Header: Depth=2
	buffer_load_dword v3, v2, s[0:3], 0 offen
	s_add_i32 s8, s8, -1
	v_add_u32_e32 v2, 4, v2
	s_cmp_eq_u32 s8, 0
	s_waitcnt vmcnt(0)
	buffer_store_dword v3, v1, s[0:3], 0 offen
	v_add_u32_e32 v1, 4, v1
	s_cbranch_scc0 .LBB0_17
.LBB0_18:                               ;   in Loop: Header=BB0_3 Depth=1
	v_cmp_ne_u32_e64 s[8:9], 1, v24
	s_andn2_b64 vcc, exec, s[26:27]
	s_cbranch_vccnz .LBB0_24
; %bb.19:                               ;   in Loop: Header=BB0_3 Depth=1
	s_mov_b32 s50, 0
	v_mov_b32_e32 v1, v11
	v_mov_b32_e32 v2, v10
	s_branch .LBB0_21
.LBB0_20:                               ;   in Loop: Header=BB0_21 Depth=2
	v_add_u32_e32 v2, s62, v2
	s_cmp_eq_u32 s50, s21
	v_add_u32_e32 v1, 4, v1
	s_cbranch_scc1 .LBB0_24
.LBB0_21:                               ;   Parent Loop BB0_3 Depth=1
                                        ; =>  This Loop Header: Depth=2
                                        ;       Child Loop BB0_23 Depth 3
	s_mov_b32 s10, s50
	s_add_i32 s50, s50, 1
	s_cmp_ge_i32 s50, s22
	s_cbranch_scc1 .LBB0_20
; %bb.22:                               ;   in Loop: Header=BB0_21 Depth=2
	s_lshl_b32 s10, s10, 2
	v_add_u32_e32 v3, s10, v23
	buffer_load_dword v29, v3, s[0:3], 0 offen
	v_mov_b32_e32 v3, 0
	s_mov_b64 s[10:11], s[16:17]
	v_mov_b32_e32 v4, v1
	v_mov_b32_e32 v28, v2
	s_mov_b32 s51, s50
	s_waitcnt vmcnt(0)
	v_mul_f32_e32 v29, v6, v29
.LBB0_23:                               ;   Parent Loop BB0_3 Depth=1
                                        ;     Parent Loop BB0_21 Depth=2
                                        ; =>    This Inner Loop Header: Depth=3
	buffer_load_dword v30, v4, s[0:3], 0 offen
	s_load_dword s54, s[10:11], 0x0
	s_add_i32 s51, s51, 1
	s_add_u32 s10, s10, 4
	s_addc_u32 s11, s11, 0
	s_cmp_ge_i32 s51, s22
	s_waitcnt lgkmcnt(0)
	v_mul_f32_e32 v31, s54, v5
	v_fma_f32 v36, -0.5, v31, v29
	s_waitcnt vmcnt(0)
	v_mul_f32_e32 v32, v31, v30
	v_fma_f32 v33, v30, s20, 1.0
	v_div_scale_f32 v34, s[52:53], v33, v33, v32
	v_rcp_f32_e32 v35, v34
	v_div_scale_f32 v37, vcc, v32, v33, v32
	v_fma_f32 v38, -v34, v35, 1.0
	v_fmac_f32_e32 v35, v38, v35
	v_mul_f32_e32 v38, v37, v35
	v_fma_f32 v39, -v34, v38, v37
	v_fmac_f32_e32 v38, v39, v35
	v_fma_f32 v34, -v34, v38, v37
	v_div_fmas_f32 v34, v34, v35, v38
	v_div_fixup_f32 v32, v34, v33, v32
	v_add_f32_e32 v3, v3, v32
	v_mul_f32_e32 v31, v31, v3
	v_fmac_f32_e32 v31, s54, v36
	v_mul_f32_e32 v31, 0x3fb8aa3b, v31
	v_exp_f32_e32 v31, v31
	v_mul_f32_e32 v30, v30, v31
	buffer_store_dword v30, v4, s[0:3], 0 offen
	buffer_store_dword v30, v28, s[0:3], 0 offen
	v_add_u32_e32 v28, 4, v28
	v_add_u32_e32 v4, 4, v4
	s_cbranch_scc0 .LBB0_23
	s_branch .LBB0_20
.LBB0_24:                               ;   in Loop: Header=BB0_3 Depth=1
	v_cndmask_b32_e64 v1, 0, 1, s[28:29]
	v_cmp_ne_u32_e64 s[10:11], 1, v1
	s_andn2_b64 vcc, exec, s[28:29]
	s_cbranch_vccnz .LBB0_27
; %bb.25:                               ;   in Loop: Header=BB0_3 Depth=1
	v_mov_b32_e32 v1, 0xb0
	v_mov_b32_e32 v2, 16
	s_mov_b32 s50, 0
	v_mov_b32_e32 v3, 0
	v_mov_b32_e32 v4, 1.0
	v_mov_b32_e32 v28, v8
.LBB0_26:                               ;   Parent Loop BB0_3 Depth=1
                                        ; =>  This Inner Loop Header: Depth=2
	buffer_load_dword v29, v28, s[0:3], 0 offen
	s_add_i32 s50, s50, 1
	v_add_u32_e32 v28, 4, v28
	s_cmp_ge_i32 s50, s56
	s_waitcnt vmcnt(0)
	v_fma_f32 v29, v29, s20, 1.0
	v_div_scale_f32 v30, s[52:53], v29, v29, v4
	v_rcp_f32_e32 v32, v30
	v_div_scale_f32 v31, vcc, v4, v29, v4
	v_fma_f32 v33, -v30, v32, 1.0
	v_fmac_f32_e32 v32, v33, v32
	v_mul_f32_e32 v33, v31, v32
	v_fma_f32 v34, -v30, v33, v31
	v_fmac_f32_e32 v33, v34, v32
	v_fma_f32 v30, -v30, v33, v31
	v_div_fmas_f32 v30, v30, v32, v33
	v_div_fixup_f32 v4, v30, v29, v4
	v_fmac_f32_e32 v3, s20, v4
	buffer_store_dword v4, v2, s[0:3], 0 offen
	v_add_u32_e32 v2, 4, v2
	buffer_store_dword v3, v1, s[0:3], 0 offen
	v_add_u32_e32 v1, 4, v1
	s_cbranch_scc0 .LBB0_26
.LBB0_27:                               ;   in Loop: Header=BB0_3 Depth=1
	s_andn2_b64 vcc, exec, s[30:31]
	v_mov_b32_e32 v1, 0
	buffer_store_dword v25, off, s[0:3], 0 offset:340
	buffer_store_dword v25, off, s[0:3], 0 offset:336
	;; [unrolled: 1-line block ×80, first 2 shown]
	s_cbranch_vccnz .LBB0_32
; %bb.28:                               ;   in Loop: Header=BB0_3 Depth=1
	s_mov_b64 s[50:51], s[24:25]
	s_mov_b64 s[52:53], s[18:19]
	s_mov_b32 s68, s23
	s_branch .LBB0_30
.LBB0_29:                               ;   in Loop: Header=BB0_30 Depth=2
	s_or_b64 exec, exec, s[54:55]
	s_add_i32 s68, s68, -1
	s_add_u32 s52, s52, 4
	s_addc_u32 s53, s53, 0
	s_add_u32 s50, s50, 4
	s_addc_u32 s51, s51, 0
	s_cmp_eq_u32 s68, 0
	s_cbranch_scc1 .LBB0_32
.LBB0_30:                               ;   Parent Loop BB0_3 Depth=1
                                        ; =>  This Inner Loop Header: Depth=2
	s_load_dword s54, s[52:53], 0x0
	s_waitcnt lgkmcnt(0)
	s_add_i32 s54, s54, -1
	s_lshl_b32 s69, s54, 2
	v_add_u32_e32 v2, s69, v16
	v_add_u32_e32 v3, s69, v26
	buffer_load_dword v2, v2, s[0:3], 0 offen
	s_nop 0
	buffer_load_dword v3, v3, s[0:3], 0 offen
	s_load_dword s70, s[50:51], 0x0
	s_waitcnt vmcnt(0) lgkmcnt(0)
	v_fmac_f32_e32 v2, s70, v3
	v_add_f32_e32 v2, -1.0, v2
	v_cmp_gt_f32_e32 vcc, 0, v2
	s_and_saveexec_b64 s[54:55], vcc
	s_cbranch_execz .LBB0_29
; %bb.31:                               ;   in Loop: Header=BB0_30 Depth=2
	v_add_u32_e32 v3, s69, v14
	v_add_u32_e32 v4, s69, v12
	buffer_load_dword v28, v3, s[0:3], 0 offen
	buffer_load_dword v29, v4, s[0:3], 0 offen
	v_fmac_f32_e32 v1, 0xc2c80000, v2
	s_waitcnt vmcnt(1)
	v_fmac_f32_e32 v28, s70, v27
	s_waitcnt vmcnt(0)
	v_add_f32_e32 v2, 0xc2c80000, v29
	buffer_store_dword v28, v3, s[0:3], 0 offen
	buffer_store_dword v2, v4, s[0:3], 0 offen
	s_branch .LBB0_29
.LBB0_32:                               ;   in Loop: Header=BB0_3 Depth=1
	s_and_b64 vcc, exec, s[10:11]
	s_cbranch_vccnz .LBB0_37
; %bb.33:                               ;   in Loop: Header=BB0_3 Depth=1
	v_mov_b32_e32 v2, 0x290
	v_mov_b32_e32 v3, v17
	v_mov_b32_e32 v4, v15
	v_mov_b32_e32 v28, v13
	s_mov_b32 s10, s63
	s_branch .LBB0_35
.LBB0_34:                               ;   in Loop: Header=BB0_35 Depth=2
	s_add_i32 s10, s10, -1
	v_add_u32_e32 v28, -4, v28
	v_add_u32_e32 v4, -4, v4
	;; [unrolled: 1-line block ×3, first 2 shown]
	s_cmp_lt_u32 s10, 2
	v_add_u32_e32 v3, -4, v3
	s_cbranch_scc1 .LBB0_37
.LBB0_35:                               ;   Parent Loop BB0_3 Depth=1
                                        ; =>  This Inner Loop Header: Depth=2
	v_add_u32_e32 v29, s64, v4
	v_add_u32_e32 v34, s64, v2
	;; [unrolled: 1-line block ×3, first 2 shown]
	buffer_load_dword v31, v29, s[0:3], 0 offen offset:4
	buffer_load_dword v32, v30, s[0:3], 0 offen offset:4
	;; [unrolled: 1-line block ×3, first 2 shown]
	v_add_u32_e32 v35, s64, v3
	buffer_load_dword v35, v35, s[0:3], 0 offen offset:4
	s_cmp_eq_u32 s10, 2
	s_waitcnt vmcnt(2)
	v_fmac_f32_e32 v32, s20, v31
	s_waitcnt vmcnt(1)
	v_fma_f32 v33, v33, s20, 1.0
	v_div_scale_f32 v36, s[50:51], v33, v33, s20
	v_rcp_f32_e32 v37, v36
	v_div_scale_f32 v38, vcc, s20, v33, s20
	s_waitcnt vmcnt(0)
	v_mul_f32_e64 v35, v35, -v32
	v_fma_f32 v39, -v36, v37, 1.0
	v_fmac_f32_e32 v37, v39, v37
	v_mul_f32_e32 v39, v38, v37
	v_fma_f32 v40, -v36, v39, v38
	v_fmac_f32_e32 v39, v40, v37
	v_fma_f32 v36, -v36, v39, v38
	v_div_fmas_f32 v36, v36, v37, v39
	v_div_fixup_f32 v33, v36, v33, s20
	v_mul_f32_e32 v33, v35, v33
	buffer_store_dword v32, v30, s[0:3], 0 offen offset:4
	buffer_store_dword v33, v34, s[0:3], 0 offen offset:4
	s_cbranch_scc1 .LBB0_34
; %bb.36:                               ;   in Loop: Header=BB0_35 Depth=2
	buffer_load_dword v34, v29, s[0:3], 0 offen
	buffer_load_dword v35, v30, s[0:3], 0 offen
	v_fma_f32 v33, v33, s20, 1.0
	v_div_scale_f32 v36, s[50:51], v33, v33, v32
	v_rcp_f32_e32 v37, v36
	v_div_scale_f32 v38, vcc, v32, v33, v32
	v_fma_f32 v39, -v36, v37, 1.0
	v_fmac_f32_e32 v37, v39, v37
	v_mul_f32_e32 v39, v38, v37
	v_fma_f32 v40, -v36, v39, v38
	v_fmac_f32_e32 v39, v40, v37
	v_fma_f32 v36, -v36, v39, v38
	v_div_fmas_f32 v36, v36, v37, v39
	v_div_fixup_f32 v32, v36, v33, v32
	s_waitcnt vmcnt(1)
	v_add_f32_e32 v31, v31, v34
	s_waitcnt vmcnt(0)
	v_add_f32_e32 v32, v32, v35
	buffer_store_dword v31, v29, s[0:3], 0 offen
	buffer_store_dword v32, v30, s[0:3], 0 offen
	s_branch .LBB0_34
.LBB0_37:                               ;   in Loop: Header=BB0_3 Depth=1
	s_and_b64 vcc, exec, s[8:9]
	s_cbranch_vccnz .LBB0_41
; %bb.38:                               ;   in Loop: Header=BB0_3 Depth=1
	v_mov_b32_e32 v3, 0x290
	v_mov_b32_e32 v2, 1.0
	s_mov_b32 s10, s21
.LBB0_39:                               ;   Parent Loop BB0_3 Depth=1
                                        ; =>  This Inner Loop Header: Depth=2
	buffer_load_dword v4, v3, s[0:3], 0 offen
	s_add_i32 s10, s10, -1
	v_add_u32_e32 v3, 4, v3
	s_cmp_lg_u32 s10, 0
	s_waitcnt vmcnt(0)
	v_fma_f32 v4, v4, s20, 1.0
	v_div_scale_f32 v28, s[50:51], v4, v4, v2
	v_rcp_f32_e32 v29, v28
	v_div_scale_f32 v30, vcc, v2, v4, v2
	v_fma_f32 v31, -v28, v29, 1.0
	v_fmac_f32_e32 v29, v31, v29
	v_mul_f32_e32 v31, v30, v29
	v_fma_f32 v32, -v28, v31, v30
	v_fmac_f32_e32 v31, v32, v29
	v_fma_f32 v28, -v28, v31, v30
	v_div_fmas_f32 v28, v28, v29, v31
	v_div_fixup_f32 v2, v28, v4, v2
	s_cbranch_scc1 .LBB0_39
; %bb.40:                               ;   in Loop: Header=BB0_3 Depth=1
	s_and_b64 vcc, exec, s[8:9]
	v_mul_f32_e32 v28, v1, v2
	s_cbranch_vccz .LBB0_42
	s_branch .LBB0_49
.LBB0_41:                               ;   in Loop: Header=BB0_3 Depth=1
	v_mov_b32_e32 v2, 1.0
	s_and_b64 vcc, exec, s[8:9]
	v_mul_f32_e32 v28, v1, v2
	s_cbranch_vccnz .LBB0_49
.LBB0_42:                               ;   in Loop: Header=BB0_3 Depth=1
	v_mul_f32_e64 v4, -v28, s20
	s_and_b64 vcc, exec, s[38:39]
	s_cbranch_vccz .LBB0_46
; %bb.43:                               ;   in Loop: Header=BB0_3 Depth=1
	v_mov_b32_e32 v3, 0x290
	v_mov_b32_e32 v1, v4
	s_mov_b32 s50, s59
.LBB0_44:                               ;   Parent Loop BB0_3 Depth=1
                                        ; =>  This Inner Loop Header: Depth=2
	buffer_load_dword v30, v3, s[0:3], 0 offen
	buffer_load_dword v31, v3, s[0:3], 0 offen offset:4
	s_add_i32 s50, s50, -2
	s_mov_b32 s51, s59
	s_cmp_lg_u32 s50, 0
	s_waitcnt vmcnt(0)
	v_pk_fma_f32 v[30:31], v[30:31], s[40:41], 1.0 op_sel_hi:[1,1,0]
	v_div_scale_f32 v29, s[10:11], v31, v31, v1
	v_div_scale_f32 v33, s[10:11], v30, v30, v4
	v_rcp_f32_e32 v34, v29
	v_rcp_f32_e32 v35, v33
	v_div_scale_f32 v32, vcc, v1, v31, v1
	v_fma_f32 v37, -v29, v34, 1.0
	v_fma_f32 v38, -v33, v35, 1.0
	v_fmac_f32_e32 v34, v37, v34
	v_div_scale_f32 v36, s[10:11], v4, v30, v4
	v_fmac_f32_e32 v35, v38, v35
	v_mul_f32_e32 v37, v32, v34
	v_mul_f32_e32 v38, v36, v35
	v_fma_f32 v39, -v29, v37, v32
	v_fma_f32 v40, -v33, v38, v36
	v_fmac_f32_e32 v37, v39, v34
	v_fmac_f32_e32 v38, v40, v35
	v_fma_f32 v29, -v29, v37, v32
	v_fma_f32 v32, -v33, v38, v36
	v_div_fmas_f32 v29, v29, v34, v37
	s_mov_b64 vcc, s[10:11]
	v_div_fixup_f32 v29, v29, v31, v1
	v_div_fmas_f32 v31, v32, v35, v38
	v_div_fixup_f32 v30, v31, v30, v4
	buffer_store_dword v29, v3, s[0:3], 0 offen offset:4
	buffer_store_dword v30, v3, s[0:3], 0 offen
	v_add_u32_e32 v3, 8, v3
	s_mov_b64 s[10:11], s[42:43]
	s_cbranch_scc1 .LBB0_44
; %bb.45:                               ;   in Loop: Header=BB0_3 Depth=1
	s_and_b64 vcc, exec, s[10:11]
	s_cbranch_vccnz .LBB0_47
	s_branch .LBB0_49
.LBB0_46:                               ;   in Loop: Header=BB0_3 Depth=1
	s_mov_b32 s51, 0
	s_cbranch_execz .LBB0_49
.LBB0_47:                               ;   in Loop: Header=BB0_3 Depth=1
	s_lshl_b32 s10, s51, 2
	v_add_u32_e32 v1, s10, v7
	s_sub_i32 s10, s21, s51
.LBB0_48:                               ;   Parent Loop BB0_3 Depth=1
                                        ; =>  This Inner Loop Header: Depth=2
	buffer_load_dword v3, v1, s[0:3], 0 offen
	s_add_i32 s10, s10, -1
	s_cmp_eq_u32 s10, 0
	s_waitcnt vmcnt(0)
	v_fma_f32 v3, v3, s20, 1.0
	v_div_scale_f32 v29, s[50:51], v3, v3, v4
	v_rcp_f32_e32 v30, v29
	v_div_scale_f32 v31, vcc, v4, v3, v4
	v_fma_f32 v32, -v29, v30, 1.0
	v_fmac_f32_e32 v30, v32, v30
	v_mul_f32_e32 v32, v31, v30
	v_fma_f32 v33, -v29, v32, v31
	v_fmac_f32_e32 v32, v33, v30
	v_fma_f32 v29, -v29, v32, v31
	v_div_fmas_f32 v29, v29, v30, v32
	v_div_fixup_f32 v3, v29, v3, v4
	buffer_store_dword v3, v1, s[0:3], 0 offen
	v_add_u32_e32 v1, 4, v1
	s_cbranch_scc0 .LBB0_48
.LBB0_49:                               ;   in Loop: Header=BB0_3 Depth=1
	s_andn2_b64 vcc, exec, s[34:35]
	s_cbranch_vccnz .LBB0_59
; %bb.50:                               ;   in Loop: Header=BB0_3 Depth=1
	s_mov_b64 s[10:11], -1
	s_and_b64 vcc, exec, s[44:45]
	s_mov_b32 s50, s21
	s_mov_b32 s51, s57
	s_cbranch_vccz .LBB0_56
; %bb.51:                               ;   in Loop: Header=BB0_3 Depth=1
	v_mov_b32_e32 v3, v2
	s_mov_b32 s10, s60
	v_mov_b32_e32 v1, v8
.LBB0_52:                               ;   Parent Loop BB0_3 Depth=1
                                        ; =>  This Inner Loop Header: Depth=2
	buffer_load_dword v30, v1, s[0:3], 0 offen
	buffer_load_dword v31, v1, s[0:3], 0 offen offset:4
	buffer_load_dword v32, v1, s[0:3], 0 offen offset:8
	;; [unrolled: 1-line block ×3, first 2 shown]
	s_add_i32 s10, s10, -4
	s_cmp_lg_u32 s10, 0
	s_waitcnt vmcnt(2)
	v_pk_mul_f32 v[30:31], v[2:3], v[30:31]
	s_waitcnt vmcnt(0)
	v_pk_mul_f32 v[32:33], v[2:3], v[32:33]
	buffer_store_dword v30, v1, s[0:3], 0 offen
	buffer_store_dword v31, v1, s[0:3], 0 offen offset:4
	buffer_store_dword v32, v1, s[0:3], 0 offen offset:8
	;; [unrolled: 1-line block ×3, first 2 shown]
	v_add_u32_e32 v1, 16, v1
	s_cbranch_scc1 .LBB0_52
; %bb.53:                               ;   in Loop: Header=BB0_3 Depth=1
	s_andn2_b64 vcc, exec, s[46:47]
	s_mov_b64 s[10:11], 0
                                        ; implicit-def: $sgpr51
	s_cbranch_vccnz .LBB0_55
; %bb.54:                               ;   in Loop: Header=BB0_3 Depth=1
	s_lshl_b32 s51, s61, 2
	s_mov_b64 s[10:11], -1
.LBB0_55:                               ;   in Loop: Header=BB0_3 Depth=1
	s_mov_b32 s50, s61
.LBB0_56:                               ;   in Loop: Header=BB0_3 Depth=1
	s_and_b64 vcc, exec, s[10:11]
	s_cbranch_vccz .LBB0_59
; %bb.57:                               ;   in Loop: Header=BB0_3 Depth=1
	v_add_u32_e32 v1, s51, v7
.LBB0_58:                               ;   Parent Loop BB0_3 Depth=1
                                        ; =>  This Inner Loop Header: Depth=2
	buffer_load_dword v3, v1, s[0:3], 0 offen
	s_add_i32 s50, s50, 1
	s_cmp_lt_i32 s50, s22
	s_waitcnt vmcnt(0)
	v_mul_f32_e32 v3, v2, v3
	buffer_store_dword v3, v1, s[0:3], 0 offen
	v_add_u32_e32 v1, 4, v1
	s_cbranch_scc1 .LBB0_58
.LBB0_59:                               ;   in Loop: Header=BB0_3 Depth=1
	v_ashrrev_i32_e32 v1, 31, v0
	v_lshlrev_b64 v[2:3], 2, v[0:1]
	v_mov_b32_e32 v1, s13
	v_add_co_u32_e32 v30, vcc, s12, v2
	v_addc_co_u32_e32 v31, vcc, v1, v3, vcc
	s_and_b64 vcc, exec, s[8:9]
	v_mov_b32_e32 v1, v19
	v_mov_b32_e32 v4, v18
	s_mov_b32 s10, s65
	s_mov_b32 s11, s21
	global_store_dword v[30:31], v28, off
	s_cbranch_vccz .LBB0_61
	s_branch .LBB0_2
.LBB0_60:                               ;   in Loop: Header=BB0_61 Depth=2
	s_add_i32 s8, s11, -1
	s_add_i32 s10, s10, 1
	v_add_u32_e32 v4, s66, v4
	v_add_u32_e32 v1, s66, v1
	s_cmp_lt_i32 s11, 2
	s_mov_b32 s11, s8
	s_cbranch_scc1 .LBB0_2
.LBB0_61:                               ;   Parent Loop BB0_3 Depth=1
                                        ; =>  This Loop Header: Depth=2
                                        ;       Child Loop BB0_63 Depth 3
	s_cmp_ge_i32 s11, s22
	s_cbranch_scc1 .LBB0_60
; %bb.62:                               ;   in Loop: Header=BB0_61 Depth=2
	v_mov_b32_e32 v28, 0
	v_mov_b32_e32 v29, v20
	;; [unrolled: 1-line block ×4, first 2 shown]
	s_mov_b32 s50, s22
.LBB0_63:                               ;   Parent Loop BB0_3 Depth=1
                                        ;     Parent Loop BB0_61 Depth=2
                                        ; =>    This Inner Loop Header: Depth=3
	buffer_load_dword v32, v30, s[0:3], 0 offen
	buffer_load_dword v33, v31, s[0:3], 0 offen
	;; [unrolled: 1-line block ×3, first 2 shown]
	s_add_i32 s8, s10, s50
	s_ashr_i32 s9, s8, 31
	s_add_i32 s51, s50, -1
	s_lshl_b64 s[8:9], s[8:9], 2
	s_add_u32 s8, s16, s8
	s_addc_u32 s9, s17, s9
	s_load_dword s54, s[8:9], 0x0
	v_add_u32_e32 v31, -4, v31
	v_add_u32_e32 v30, -4, v30
	s_mov_b32 s50, s51
	s_cmp_le_i32 s51, s11
	s_waitcnt vmcnt(2) lgkmcnt(0)
	v_mul_f32_e32 v35, s54, v32
	s_waitcnt vmcnt(1)
	v_fma_f32 v36, v33, s20, 1.0
	s_waitcnt vmcnt(0)
	v_fmac_f32_e32 v28, v35, v34
	v_div_scale_f32 v35, s[52:53], v36, v36, s20
	v_div_scale_f32 v37, s[8:9], v33, v33, v32
	v_rcp_f32_e32 v41, v35
	v_rcp_f32_e32 v40, v37
	v_div_scale_f32 v39, vcc, s20, v36, s20
	v_fma_f32 v44, -v35, v41, 1.0
	v_fma_f32 v43, -v37, v40, 1.0
	v_fmac_f32_e32 v41, v44, v41
	v_div_scale_f32 v38, s[8:9], v32, v33, v32
	v_fmac_f32_e32 v40, v43, v40
	v_mul_f32_e32 v44, v39, v41
	v_mul_f32_e32 v43, v38, v40
	v_fma_f32 v46, -v35, v44, v39
	v_fma_f32 v45, -v37, v43, v38
	v_fmac_f32_e32 v44, v46, v41
	v_fmac_f32_e32 v43, v45, v40
	v_fma_f32 v35, -v35, v44, v39
	v_fma_f32 v37, -v37, v43, v38
	v_div_fmas_f32 v35, v35, v41, v44
	s_mov_b64 vcc, s[8:9]
	v_mul_f32_e32 v42, s54, v28
	v_div_fixup_f32 v35, v35, v36, s20
	v_div_fmas_f32 v36, v37, v40, v43
	v_div_fixup_f32 v32, v36, v33, v32
	v_mul_f32_e32 v33, v42, v35
	v_mul_f32_e32 v33, v35, v33
	v_fmac_f32_e32 v33, v34, v32
	buffer_store_dword v33, v29, s[0:3], 0 offen
	v_add_u32_e32 v29, -4, v29
	s_cbranch_scc0 .LBB0_63
	s_branch .LBB0_60
.LBB0_64:
	s_endpgm
	.section	.rodata,"a",@progbits
	.p2align	6, 0x0
	.amdhsa_kernel _Z28Pathcalc_Portfolio_KernelGPUPfS_PKfPKiS1_fiii
		.amdhsa_group_segment_fixed_size 0
		.amdhsa_private_segment_fixed_size 14416
		.amdhsa_kernarg_size 312
		.amdhsa_user_sgpr_count 8
		.amdhsa_user_sgpr_private_segment_buffer 1
		.amdhsa_user_sgpr_dispatch_ptr 0
		.amdhsa_user_sgpr_queue_ptr 0
		.amdhsa_user_sgpr_kernarg_segment_ptr 1
		.amdhsa_user_sgpr_dispatch_id 0
		.amdhsa_user_sgpr_flat_scratch_init 1
		.amdhsa_user_sgpr_kernarg_preload_length 0
		.amdhsa_user_sgpr_kernarg_preload_offset 0
		.amdhsa_user_sgpr_private_segment_size 0
		.amdhsa_uses_dynamic_stack 0
		.amdhsa_system_sgpr_private_segment_wavefront_offset 1
		.amdhsa_system_sgpr_workgroup_id_x 1
		.amdhsa_system_sgpr_workgroup_id_y 0
		.amdhsa_system_sgpr_workgroup_id_z 0
		.amdhsa_system_sgpr_workgroup_info 0
		.amdhsa_system_vgpr_workitem_id 0
		.amdhsa_next_free_vgpr 47
		.amdhsa_next_free_sgpr 71
		.amdhsa_accum_offset 48
		.amdhsa_reserve_vcc 1
		.amdhsa_reserve_flat_scratch 0
		.amdhsa_float_round_mode_32 0
		.amdhsa_float_round_mode_16_64 0
		.amdhsa_float_denorm_mode_32 3
		.amdhsa_float_denorm_mode_16_64 3
		.amdhsa_dx10_clamp 1
		.amdhsa_ieee_mode 1
		.amdhsa_fp16_overflow 0
		.amdhsa_tg_split 0
		.amdhsa_exception_fp_ieee_invalid_op 0
		.amdhsa_exception_fp_denorm_src 0
		.amdhsa_exception_fp_ieee_div_zero 0
		.amdhsa_exception_fp_ieee_overflow 0
		.amdhsa_exception_fp_ieee_underflow 0
		.amdhsa_exception_fp_ieee_inexact 0
		.amdhsa_exception_int_div_zero 0
	.end_amdhsa_kernel
	.text
.Lfunc_end0:
	.size	_Z28Pathcalc_Portfolio_KernelGPUPfS_PKfPKiS1_fiii, .Lfunc_end0-_Z28Pathcalc_Portfolio_KernelGPUPfS_PKfPKiS1_fiii
                                        ; -- End function
	.section	.AMDGPU.csdata,"",@progbits
; Kernel info:
; codeLenInByte = 3872
; NumSgprs: 75
; NumVgprs: 47
; NumAgprs: 0
; TotalNumVgprs: 47
; ScratchSize: 14416
; MemoryBound: 0
; FloatMode: 240
; IeeeMode: 1
; LDSByteSize: 0 bytes/workgroup (compile time only)
; SGPRBlocks: 9
; VGPRBlocks: 5
; NumSGPRsForWavesPerEU: 75
; NumVGPRsForWavesPerEU: 47
; AccumOffset: 48
; Occupancy: 8
; WaveLimiterHint : 0
; COMPUTE_PGM_RSRC2:SCRATCH_EN: 1
; COMPUTE_PGM_RSRC2:USER_SGPR: 8
; COMPUTE_PGM_RSRC2:TRAP_HANDLER: 0
; COMPUTE_PGM_RSRC2:TGID_X_EN: 1
; COMPUTE_PGM_RSRC2:TGID_Y_EN: 0
; COMPUTE_PGM_RSRC2:TGID_Z_EN: 0
; COMPUTE_PGM_RSRC2:TIDIG_COMP_CNT: 0
; COMPUTE_PGM_RSRC3_GFX90A:ACCUM_OFFSET: 11
; COMPUTE_PGM_RSRC3_GFX90A:TG_SPLIT: 0
	.text
	.protected	_Z29Pathcalc_Portfolio_KernelGPU2PfPKfPKiS1_fiii ; -- Begin function _Z29Pathcalc_Portfolio_KernelGPU2PfPKfPKiS1_fiii
	.globl	_Z29Pathcalc_Portfolio_KernelGPU2PfPKfPKiS1_fiii
	.p2align	8
	.type	_Z29Pathcalc_Portfolio_KernelGPU2PfPKfPKiS1_fiii,@function
_Z29Pathcalc_Portfolio_KernelGPU2PfPKfPKiS1_fiii: ; @_Z29Pathcalc_Portfolio_KernelGPU2PfPKfPKiS1_fiii
; %bb.0:
	s_add_u32 s0, s0, s9
	s_load_dword s9, s[4:5], 0x3c
	s_addc_u32 s1, s1, 0
	s_add_u32 s6, s4, 48
	s_addc_u32 s7, s5, 0
	s_waitcnt lgkmcnt(0)
	s_and_b32 s9, s9, 0xffff
	s_mul_i32 s8, s8, s9
	v_add_u32_e32 v0, s8, v0
	s_mov_b32 s8, 0x17700
	v_cmp_gt_i32_e32 vcc, s8, v0
	s_and_saveexec_b64 s[10:11], vcc
	s_cbranch_execz .LBB1_27
; %bb.1:
	s_load_dword s33, s[6:7], 0x0
	s_load_dwordx8 s[16:23], s[4:5], 0x10
	s_load_dwordx4 s[24:27], s[4:5], 0x0
	v_mov_b32_e32 v1, 0xf800000
	v_mov_b32_e32 v2, 0x4f800000
	s_waitcnt lgkmcnt(0)
	s_mul_i32 s33, s33, s9
	v_mul_f32_e32 v3, s20, v2
	v_mov_b32_e32 v2, s20
	v_cmp_lt_f32_e32 vcc, s20, v1
	v_cndmask_b32_e32 v1, v2, v3, vcc
	v_sqrt_f32_e32 v3, v1
	s_cmp_gt_i32 s22, 0
	s_cselect_b64 s[6:7], -1, 0
	s_cmp_gt_i32 s21, 0
	v_add_u32_e32 v4, -1, v3
	v_fma_f32 v5, -v4, v3, v1
	v_cmp_ge_f32_e64 s[4:5], 0, v5
	v_add_u32_e32 v5, 1, v3
	v_cndmask_b32_e64 v4, v3, v4, s[4:5]
	v_fma_f32 v3, -v5, v3, v1
	s_cselect_b64 s[8:9], -1, 0
	v_cmp_lt_f32_e64 s[4:5], 0, v3
	s_cmp_lt_i32 s21, s22
	v_cndmask_b32_e64 v3, v4, v5, s[4:5]
	s_cselect_b64 s[10:11], -1, 0
	s_cmp_gt_i32 s23, 0
	v_mul_f32_e32 v4, 0x37800000, v3
	s_cselect_b64 s[12:13], -1, 0
	s_cmp_lg_u32 s22, 1
	v_cndmask_b32_e32 v3, v3, v4, vcc
	v_mov_b32_e32 v4, 0x260
	s_cselect_b64 s[30:31], -1, 0
	s_and_b32 s36, s22, 0x7ffffffe
	v_cmp_class_f32_e32 vcc, v1, v4
	s_cmp_lg_u32 s36, s22
	v_cndmask_b32_e32 v3, v3, v1, vcc
	s_cselect_b64 s[14:15], -1, 0
	v_mov_b32_e32 v4, 0x140
	s_lshl_b32 s4, s21, 2
	v_cndmask_b32_e64 v1, 0, 1, s[6:7]
	v_add_u32_e32 v6, s4, v4
	v_cmp_ne_u32_e64 s[4:5], 1, v1
	v_cndmask_b32_e64 v1, 0, 1, s[30:31]
	v_cmp_ne_u32_e64 s[6:7], 1, v1
	v_cndmask_b32_e64 v1, 0, 1, s[8:9]
	v_cmp_ne_u32_e64 s[8:9], 1, v1
	v_cndmask_b32_e64 v1, 0, 1, s[10:11]
	v_cmp_ne_u32_e64 s[10:11], 1, v1
	v_cndmask_b32_e64 v1, 0, 1, s[12:13]
	v_or_b32_e32 v5, 4, v4
	s_mov_b64 s[28:29], 0
	v_mov_b32_e32 v7, 0x3e99999a
	v_mov_b32_e32 v8, 0x3d4ccccd
	;; [unrolled: 1-line block ×3, first 2 shown]
	v_cmp_ne_u32_e64 s[12:13], 1, v1
	v_mov_b32_e32 v10, 0
	v_mov_b32_e32 v11, 0xa0
	s_mov_b32 s37, 0x176ff
	s_branch .LBB1_4
.LBB1_2:                                ;   in Loop: Header=BB1_4 Depth=1
	v_mov_b32_e32 v12, 1.0
.LBB1_3:                                ;   in Loop: Header=BB1_4 Depth=1
	v_mul_f32_e32 v14, v1, v12
	v_ashrrev_i32_e32 v1, 31, v0
	v_lshlrev_b64 v[12:13], 2, v[0:1]
	v_mov_b32_e32 v1, s25
	v_add_co_u32_e32 v12, vcc, s24, v12
	v_addc_co_u32_e32 v13, vcc, v1, v13, vcc
	v_add_u32_e32 v0, s33, v0
	v_cmp_lt_i32_e32 vcc, s37, v0
	s_or_b64 s[28:29], vcc, s[28:29]
	global_store_dword v[12:13], v14, off
	s_andn2_b64 exec, exec, s[28:29]
	s_cbranch_execz .LBB1_27
.LBB1_4:                                ; =>This Loop Header: Depth=1
                                        ;     Child Loop BB1_7 Depth 2
                                        ;     Child Loop BB1_11 Depth 2
	;; [unrolled: 1-line block ×3, first 2 shown]
                                        ;       Child Loop BB1_17 Depth 3
                                        ;     Child Loop BB1_20 Depth 2
                                        ;     Child Loop BB1_23 Depth 2
	;; [unrolled: 1-line block ×3, first 2 shown]
	s_and_b64 vcc, exec, s[4:5]
	s_cbranch_vccnz .LBB1_12
; %bb.5:                                ;   in Loop: Header=BB1_4 Depth=1
	s_and_b64 vcc, exec, s[6:7]
	s_cbranch_vccnz .LBB1_9
; %bb.6:                                ;   in Loop: Header=BB1_4 Depth=1
	v_mov_b32_e32 v1, 0x280
	v_mov_b32_e32 v12, 0x140
	s_mov_b32 s34, s36
.LBB1_7:                                ;   Parent Loop BB1_4 Depth=1
                                        ; =>  This Inner Loop Header: Depth=2
	s_add_i32 s34, s34, -2
	buffer_store_dword v7, v1, s[0:3], 0 offen offset:4
	buffer_store_dword v7, v1, s[0:3], 0 offen
	buffer_store_dword v8, v12, s[0:3], 0 offen offset:4
	buffer_store_dword v8, v12, s[0:3], 0 offen
	v_add_u32_e32 v1, 8, v1
	v_add_u32_e32 v12, 8, v12
	s_mov_b32 s35, s36
	s_cmp_lg_u32 s34, 0
	s_mov_b64 s[30:31], s[14:15]
	s_cbranch_scc1 .LBB1_7
; %bb.8:                                ;   in Loop: Header=BB1_4 Depth=1
	s_and_b64 vcc, exec, s[30:31]
	s_cbranch_vccnz .LBB1_10
	s_branch .LBB1_12
.LBB1_9:                                ;   in Loop: Header=BB1_4 Depth=1
	s_mov_b32 s35, 0
	s_cbranch_execz .LBB1_12
.LBB1_10:                               ;   in Loop: Header=BB1_4 Depth=1
	s_lshl_b32 s31, s35, 2
	s_sub_i32 s30, s22, s35
	v_add_u32_e32 v1, s31, v9
	v_add_u32_e32 v12, s31, v4
.LBB1_11:                               ;   Parent Loop BB1_4 Depth=1
                                        ; =>  This Inner Loop Header: Depth=2
	s_add_i32 s30, s30, -1
	buffer_store_dword v7, v1, s[0:3], 0 offen
	buffer_store_dword v8, v12, s[0:3], 0 offen
	v_add_u32_e32 v1, 4, v1
	s_cmp_lg_u32 s30, 0
	v_add_u32_e32 v12, 4, v12
	s_cbranch_scc1 .LBB1_11
.LBB1_12:                               ;   in Loop: Header=BB1_4 Depth=1
	s_and_b64 vcc, exec, s[8:9]
	s_cbranch_vccnz .LBB1_18
; %bb.13:                               ;   in Loop: Header=BB1_4 Depth=1
	s_mov_b32 s34, 0
	v_mov_b32_e32 v1, v5
	s_branch .LBB1_15
.LBB1_14:                               ;   in Loop: Header=BB1_15 Depth=2
	s_cmp_eq_u32 s34, s21
	v_add_u32_e32 v1, 4, v1
	s_cbranch_scc1 .LBB1_18
.LBB1_15:                               ;   Parent Loop BB1_4 Depth=1
                                        ; =>  This Loop Header: Depth=2
                                        ;       Child Loop BB1_17 Depth 3
	s_mov_b32 s30, s34
	s_add_i32 s34, s34, 1
	s_cmp_ge_i32 s34, s22
	s_cbranch_scc1 .LBB1_14
; %bb.16:                               ;   in Loop: Header=BB1_15 Depth=2
	s_lshl_b32 s30, s30, 2
	v_add_u32_e32 v12, s30, v9
	buffer_load_dword v14, v12, s[0:3], 0 offen
	v_mov_b32_e32 v12, 0
	s_mov_b64 s[30:31], s[26:27]
	v_mov_b32_e32 v13, v1
	s_mov_b32 s35, s34
	s_waitcnt vmcnt(0)
	v_mul_f32_e32 v14, v3, v14
.LBB1_17:                               ;   Parent Loop BB1_4 Depth=1
                                        ;     Parent Loop BB1_15 Depth=2
                                        ; =>    This Inner Loop Header: Depth=3
	buffer_load_dword v15, v13, s[0:3], 0 offen
	s_load_dword s40, s[30:31], 0x0
	s_add_i32 s35, s35, 1
	s_add_u32 s30, s30, 4
	s_addc_u32 s31, s31, 0
	s_cmp_ge_i32 s35, s22
	s_waitcnt lgkmcnt(0)
	v_mul_f32_e32 v16, s40, v2
	v_fma_f32 v21, -0.5, v16, v14
	s_waitcnt vmcnt(0)
	v_mul_f32_e32 v17, v16, v15
	v_fma_f32 v18, v15, s20, 1.0
	v_div_scale_f32 v19, s[38:39], v18, v18, v17
	v_rcp_f32_e32 v20, v19
	v_div_scale_f32 v22, vcc, v17, v18, v17
	v_fma_f32 v23, -v19, v20, 1.0
	v_fmac_f32_e32 v20, v23, v20
	v_mul_f32_e32 v23, v22, v20
	v_fma_f32 v24, -v19, v23, v22
	v_fmac_f32_e32 v23, v24, v20
	v_fma_f32 v19, -v19, v23, v22
	v_div_fmas_f32 v19, v19, v20, v23
	v_div_fixup_f32 v17, v19, v18, v17
	v_add_f32_e32 v12, v12, v17
	v_mul_f32_e32 v16, v16, v12
	v_fmac_f32_e32 v16, s40, v21
	v_mul_f32_e32 v16, 0x3fb8aa3b, v16
	v_exp_f32_e32 v16, v16
	v_mul_f32_e32 v15, v15, v16
	buffer_store_dword v15, v13, s[0:3], 0 offen
	v_add_u32_e32 v13, 4, v13
	s_cbranch_scc0 .LBB1_17
	s_branch .LBB1_14
.LBB1_18:                               ;   in Loop: Header=BB1_4 Depth=1
	s_and_b64 vcc, exec, s[10:11]
	s_cbranch_vccnz .LBB1_21
; %bb.19:                               ;   in Loop: Header=BB1_4 Depth=1
	v_mov_b32_e32 v1, 0xa0
	v_mov_b32_e32 v12, 0
	;; [unrolled: 1-line block ×3, first 2 shown]
	v_mov_b32_e32 v14, 1.0
	v_mov_b32_e32 v15, v6
	s_mov_b32 s30, s21
.LBB1_20:                               ;   Parent Loop BB1_4 Depth=1
                                        ; =>  This Inner Loop Header: Depth=2
	buffer_load_dword v16, v15, s[0:3], 0 offen
	s_add_i32 s30, s30, 1
	v_add_u32_e32 v15, 4, v15
	s_cmp_ge_i32 s30, s22
	s_waitcnt vmcnt(0)
	v_fma_f32 v16, v16, s20, 1.0
	v_div_scale_f32 v17, s[34:35], v16, v16, v14
	v_rcp_f32_e32 v19, v17
	v_div_scale_f32 v18, vcc, v14, v16, v14
	v_fma_f32 v20, -v17, v19, 1.0
	v_fmac_f32_e32 v19, v20, v19
	v_mul_f32_e32 v20, v18, v19
	v_fma_f32 v21, -v17, v20, v18
	v_fmac_f32_e32 v20, v21, v19
	v_fma_f32 v17, -v17, v20, v18
	v_div_fmas_f32 v17, v17, v19, v20
	v_div_fixup_f32 v14, v17, v16, v14
	v_fmac_f32_e32 v13, s20, v14
	buffer_store_dword v14, v12, s[0:3], 0 offen
	v_add_u32_e32 v12, 4, v12
	buffer_store_dword v13, v1, s[0:3], 0 offen
	v_add_u32_e32 v1, 4, v1
	s_cbranch_scc0 .LBB1_20
.LBB1_21:                               ;   in Loop: Header=BB1_4 Depth=1
	v_mov_b32_e32 v1, 0
	s_and_b64 vcc, exec, s[12:13]
	s_cbranch_vccnz .LBB1_24
; %bb.22:                               ;   in Loop: Header=BB1_4 Depth=1
	s_mov_b64 s[30:31], s[18:19]
	s_mov_b64 s[34:35], s[16:17]
	s_mov_b32 s38, s23
.LBB1_23:                               ;   Parent Loop BB1_4 Depth=1
                                        ; =>  This Inner Loop Header: Depth=2
	s_load_dword s39, s[34:35], 0x0
	s_add_i32 s38, s38, -1
	s_waitcnt lgkmcnt(0)
	s_lshl_b32 s39, s39, 2
	s_add_i32 s39, s39, -4
	v_add_u32_e32 v12, s39, v10
	v_add_u32_e32 v13, s39, v11
	buffer_load_dword v14, v12, s[0:3], 0 offen
	buffer_load_dword v15, v13, s[0:3], 0 offen
	s_load_dword s39, s[30:31], 0x0
	s_add_u32 s34, s34, 4
	s_addc_u32 s35, s35, 0
	v_mov_b32_e32 v12, v1
	s_add_u32 s30, s30, 4
	s_addc_u32 s31, s31, 0
	s_cmp_eq_u32 s38, 0
	s_waitcnt vmcnt(0) lgkmcnt(0)
	v_fmac_f32_e32 v14, s39, v15
	v_add_f32_e32 v13, -1.0, v14
	v_fmac_f32_e32 v12, 0xc2c80000, v13
	v_cmp_gt_f32_e32 vcc, 0, v13
	v_cndmask_b32_e32 v1, v1, v12, vcc
	s_cbranch_scc0 .LBB1_23
.LBB1_24:                               ;   in Loop: Header=BB1_4 Depth=1
	s_and_b64 vcc, exec, s[8:9]
	s_cbranch_vccnz .LBB1_2
; %bb.25:                               ;   in Loop: Header=BB1_4 Depth=1
	v_mov_b32_e32 v13, 0x140
	v_mov_b32_e32 v12, 1.0
	s_mov_b32 s30, s21
.LBB1_26:                               ;   Parent Loop BB1_4 Depth=1
                                        ; =>  This Inner Loop Header: Depth=2
	buffer_load_dword v14, v13, s[0:3], 0 offen
	s_add_i32 s30, s30, -1
	v_add_u32_e32 v13, 4, v13
	s_cmp_lg_u32 s30, 0
	s_waitcnt vmcnt(0)
	v_fma_f32 v14, v14, s20, 1.0
	v_div_scale_f32 v15, s[34:35], v14, v14, v12
	v_rcp_f32_e32 v16, v15
	v_div_scale_f32 v17, vcc, v12, v14, v12
	v_fma_f32 v18, -v15, v16, 1.0
	v_fmac_f32_e32 v16, v18, v16
	v_mul_f32_e32 v18, v17, v16
	v_fma_f32 v19, -v15, v18, v17
	v_fmac_f32_e32 v18, v19, v16
	v_fma_f32 v15, -v15, v18, v17
	v_div_fmas_f32 v15, v15, v16, v18
	v_div_fixup_f32 v12, v15, v14, v12
	s_cbranch_scc1 .LBB1_26
	s_branch .LBB1_3
.LBB1_27:
	s_endpgm
	.section	.rodata,"a",@progbits
	.p2align	6, 0x0
	.amdhsa_kernel _Z29Pathcalc_Portfolio_KernelGPU2PfPKfPKiS1_fiii
		.amdhsa_group_segment_fixed_size 0
		.amdhsa_private_segment_fixed_size 976
		.amdhsa_kernarg_size 304
		.amdhsa_user_sgpr_count 8
		.amdhsa_user_sgpr_private_segment_buffer 1
		.amdhsa_user_sgpr_dispatch_ptr 0
		.amdhsa_user_sgpr_queue_ptr 0
		.amdhsa_user_sgpr_kernarg_segment_ptr 1
		.amdhsa_user_sgpr_dispatch_id 0
		.amdhsa_user_sgpr_flat_scratch_init 1
		.amdhsa_user_sgpr_kernarg_preload_length 0
		.amdhsa_user_sgpr_kernarg_preload_offset 0
		.amdhsa_user_sgpr_private_segment_size 0
		.amdhsa_uses_dynamic_stack 0
		.amdhsa_system_sgpr_private_segment_wavefront_offset 1
		.amdhsa_system_sgpr_workgroup_id_x 1
		.amdhsa_system_sgpr_workgroup_id_y 0
		.amdhsa_system_sgpr_workgroup_id_z 0
		.amdhsa_system_sgpr_workgroup_info 0
		.amdhsa_system_vgpr_workitem_id 0
		.amdhsa_next_free_vgpr 25
		.amdhsa_next_free_sgpr 41
		.amdhsa_accum_offset 28
		.amdhsa_reserve_vcc 1
		.amdhsa_reserve_flat_scratch 0
		.amdhsa_float_round_mode_32 0
		.amdhsa_float_round_mode_16_64 0
		.amdhsa_float_denorm_mode_32 3
		.amdhsa_float_denorm_mode_16_64 3
		.amdhsa_dx10_clamp 1
		.amdhsa_ieee_mode 1
		.amdhsa_fp16_overflow 0
		.amdhsa_tg_split 0
		.amdhsa_exception_fp_ieee_invalid_op 0
		.amdhsa_exception_fp_denorm_src 0
		.amdhsa_exception_fp_ieee_div_zero 0
		.amdhsa_exception_fp_ieee_overflow 0
		.amdhsa_exception_fp_ieee_underflow 0
		.amdhsa_exception_fp_ieee_inexact 0
		.amdhsa_exception_int_div_zero 0
	.end_amdhsa_kernel
	.text
.Lfunc_end1:
	.size	_Z29Pathcalc_Portfolio_KernelGPU2PfPKfPKiS1_fiii, .Lfunc_end1-_Z29Pathcalc_Portfolio_KernelGPU2PfPKfPKiS1_fiii
                                        ; -- End function
	.section	.AMDGPU.csdata,"",@progbits
; Kernel info:
; codeLenInByte = 1372
; NumSgprs: 45
; NumVgprs: 25
; NumAgprs: 0
; TotalNumVgprs: 25
; ScratchSize: 976
; MemoryBound: 0
; FloatMode: 240
; IeeeMode: 1
; LDSByteSize: 0 bytes/workgroup (compile time only)
; SGPRBlocks: 5
; VGPRBlocks: 3
; NumSGPRsForWavesPerEU: 45
; NumVGPRsForWavesPerEU: 25
; AccumOffset: 28
; Occupancy: 8
; WaveLimiterHint : 0
; COMPUTE_PGM_RSRC2:SCRATCH_EN: 1
; COMPUTE_PGM_RSRC2:USER_SGPR: 8
; COMPUTE_PGM_RSRC2:TRAP_HANDLER: 0
; COMPUTE_PGM_RSRC2:TGID_X_EN: 1
; COMPUTE_PGM_RSRC2:TGID_Y_EN: 0
; COMPUTE_PGM_RSRC2:TGID_Z_EN: 0
; COMPUTE_PGM_RSRC2:TIDIG_COMP_CNT: 0
; COMPUTE_PGM_RSRC3_GFX90A:ACCUM_OFFSET: 6
; COMPUTE_PGM_RSRC3_GFX90A:TG_SPLIT: 0
	.text
	.p2alignl 6, 3212836864
	.fill 256, 4, 3212836864
	.type	__hip_cuid_ccf3e9a26ec6922c,@object ; @__hip_cuid_ccf3e9a26ec6922c
	.section	.bss,"aw",@nobits
	.globl	__hip_cuid_ccf3e9a26ec6922c
__hip_cuid_ccf3e9a26ec6922c:
	.byte	0                               ; 0x0
	.size	__hip_cuid_ccf3e9a26ec6922c, 1

	.ident	"AMD clang version 19.0.0git (https://github.com/RadeonOpenCompute/llvm-project roc-6.4.0 25133 c7fe45cf4b819c5991fe208aaa96edf142730f1d)"
	.section	".note.GNU-stack","",@progbits
	.addrsig
	.addrsig_sym __hip_cuid_ccf3e9a26ec6922c
	.amdgpu_metadata
---
amdhsa.kernels:
  - .agpr_count:     0
    .args:
      - .actual_access:  write_only
        .address_space:  global
        .offset:         0
        .size:           8
        .value_kind:     global_buffer
      - .actual_access:  write_only
        .address_space:  global
        .offset:         8
        .size:           8
        .value_kind:     global_buffer
      - .actual_access:  read_only
        .address_space:  global
        .offset:         16
        .size:           8
        .value_kind:     global_buffer
      - .actual_access:  read_only
        .address_space:  global
        .offset:         24
        .size:           8
        .value_kind:     global_buffer
      - .actual_access:  read_only
        .address_space:  global
        .offset:         32
        .size:           8
        .value_kind:     global_buffer
      - .offset:         40
        .size:           4
        .value_kind:     by_value
      - .offset:         44
        .size:           4
        .value_kind:     by_value
      - .offset:         48
        .size:           4
        .value_kind:     by_value
      - .offset:         52
        .size:           4
        .value_kind:     by_value
      - .offset:         56
        .size:           4
        .value_kind:     hidden_block_count_x
      - .offset:         60
        .size:           4
        .value_kind:     hidden_block_count_y
      - .offset:         64
        .size:           4
        .value_kind:     hidden_block_count_z
      - .offset:         68
        .size:           2
        .value_kind:     hidden_group_size_x
      - .offset:         70
        .size:           2
        .value_kind:     hidden_group_size_y
      - .offset:         72
        .size:           2
        .value_kind:     hidden_group_size_z
      - .offset:         74
        .size:           2
        .value_kind:     hidden_remainder_x
      - .offset:         76
        .size:           2
        .value_kind:     hidden_remainder_y
      - .offset:         78
        .size:           2
        .value_kind:     hidden_remainder_z
      - .offset:         96
        .size:           8
        .value_kind:     hidden_global_offset_x
      - .offset:         104
        .size:           8
        .value_kind:     hidden_global_offset_y
      - .offset:         112
        .size:           8
        .value_kind:     hidden_global_offset_z
      - .offset:         120
        .size:           2
        .value_kind:     hidden_grid_dims
    .group_segment_fixed_size: 0
    .kernarg_segment_align: 8
    .kernarg_segment_size: 312
    .language:       OpenCL C
    .language_version:
      - 2
      - 0
    .max_flat_workgroup_size: 1024
    .name:           _Z28Pathcalc_Portfolio_KernelGPUPfS_PKfPKiS1_fiii
    .private_segment_fixed_size: 14416
    .sgpr_count:     75
    .sgpr_spill_count: 0
    .symbol:         _Z28Pathcalc_Portfolio_KernelGPUPfS_PKfPKiS1_fiii.kd
    .uniform_work_group_size: 1
    .uses_dynamic_stack: false
    .vgpr_count:     47
    .vgpr_spill_count: 0
    .wavefront_size: 64
  - .agpr_count:     0
    .args:
      - .actual_access:  write_only
        .address_space:  global
        .offset:         0
        .size:           8
        .value_kind:     global_buffer
      - .actual_access:  read_only
        .address_space:  global
        .offset:         8
        .size:           8
        .value_kind:     global_buffer
      - .actual_access:  read_only
        .address_space:  global
        .offset:         16
        .size:           8
        .value_kind:     global_buffer
      - .actual_access:  read_only
        .address_space:  global
        .offset:         24
        .size:           8
        .value_kind:     global_buffer
      - .offset:         32
        .size:           4
        .value_kind:     by_value
      - .offset:         36
        .size:           4
        .value_kind:     by_value
      - .offset:         40
        .size:           4
        .value_kind:     by_value
      - .offset:         44
        .size:           4
        .value_kind:     by_value
      - .offset:         48
        .size:           4
        .value_kind:     hidden_block_count_x
      - .offset:         52
        .size:           4
        .value_kind:     hidden_block_count_y
      - .offset:         56
        .size:           4
        .value_kind:     hidden_block_count_z
      - .offset:         60
        .size:           2
        .value_kind:     hidden_group_size_x
      - .offset:         62
        .size:           2
        .value_kind:     hidden_group_size_y
      - .offset:         64
        .size:           2
        .value_kind:     hidden_group_size_z
      - .offset:         66
        .size:           2
        .value_kind:     hidden_remainder_x
      - .offset:         68
        .size:           2
        .value_kind:     hidden_remainder_y
      - .offset:         70
        .size:           2
        .value_kind:     hidden_remainder_z
      - .offset:         88
        .size:           8
        .value_kind:     hidden_global_offset_x
      - .offset:         96
        .size:           8
        .value_kind:     hidden_global_offset_y
      - .offset:         104
        .size:           8
        .value_kind:     hidden_global_offset_z
      - .offset:         112
        .size:           2
        .value_kind:     hidden_grid_dims
    .group_segment_fixed_size: 0
    .kernarg_segment_align: 8
    .kernarg_segment_size: 304
    .language:       OpenCL C
    .language_version:
      - 2
      - 0
    .max_flat_workgroup_size: 1024
    .name:           _Z29Pathcalc_Portfolio_KernelGPU2PfPKfPKiS1_fiii
    .private_segment_fixed_size: 976
    .sgpr_count:     45
    .sgpr_spill_count: 0
    .symbol:         _Z29Pathcalc_Portfolio_KernelGPU2PfPKfPKiS1_fiii.kd
    .uniform_work_group_size: 1
    .uses_dynamic_stack: false
    .vgpr_count:     25
    .vgpr_spill_count: 0
    .wavefront_size: 64
amdhsa.target:   amdgcn-amd-amdhsa--gfx90a
amdhsa.version:
  - 1
  - 2
...

	.end_amdgpu_metadata
